;; amdgpu-corpus repo=ROCm/rocFFT kind=compiled arch=gfx1100 opt=O3
	.text
	.amdgcn_target "amdgcn-amd-amdhsa--gfx1100"
	.amdhsa_code_object_version 6
	.protected	fft_rtc_fwd_len630_factors_3_3_5_7_2_wgs_63_tpt_63_halfLds_half_ip_CI_sbrr_dirReg ; -- Begin function fft_rtc_fwd_len630_factors_3_3_5_7_2_wgs_63_tpt_63_halfLds_half_ip_CI_sbrr_dirReg
	.globl	fft_rtc_fwd_len630_factors_3_3_5_7_2_wgs_63_tpt_63_halfLds_half_ip_CI_sbrr_dirReg
	.p2align	8
	.type	fft_rtc_fwd_len630_factors_3_3_5_7_2_wgs_63_tpt_63_halfLds_half_ip_CI_sbrr_dirReg,@function
fft_rtc_fwd_len630_factors_3_3_5_7_2_wgs_63_tpt_63_halfLds_half_ip_CI_sbrr_dirReg: ; @fft_rtc_fwd_len630_factors_3_3_5_7_2_wgs_63_tpt_63_halfLds_half_ip_CI_sbrr_dirReg
; %bb.0:
	s_clause 0x2
	s_load_b64 s[12:13], s[0:1], 0x18
	s_load_b128 s[4:7], s[0:1], 0x0
	s_load_b64 s[10:11], s[0:1], 0x50
	v_mul_u32_u24_e32 v1, 0x411, v0
	v_mov_b32_e32 v3, 0
	v_mov_b32_e32 v4, 0
	s_delay_alu instid0(VALU_DEP_3) | instskip(SKIP_1) | instid1(VALU_DEP_1)
	v_lshrrev_b32_e32 v2, 16, v1
	v_mov_b32_e32 v1, 0
	v_dual_mov_b32 v6, v1 :: v_dual_add_nc_u32 v5, s15, v2
	s_waitcnt lgkmcnt(0)
	s_load_b64 s[8:9], s[12:13], 0x0
	v_cmp_lt_u64_e64 s2, s[6:7], 2
	s_delay_alu instid0(VALU_DEP_1)
	s_and_b32 vcc_lo, exec_lo, s2
	s_cbranch_vccnz .LBB0_8
; %bb.1:
	s_load_b64 s[2:3], s[0:1], 0x10
	v_mov_b32_e32 v3, 0
	s_add_u32 s14, s12, 8
	v_mov_b32_e32 v4, 0
	s_addc_u32 s15, s13, 0
	s_mov_b64 s[18:19], 1
	s_waitcnt lgkmcnt(0)
	s_add_u32 s16, s2, 8
	s_addc_u32 s17, s3, 0
.LBB0_2:                                ; =>This Inner Loop Header: Depth=1
	s_load_b64 s[20:21], s[16:17], 0x0
                                        ; implicit-def: $vgpr7_vgpr8
	s_mov_b32 s2, exec_lo
	s_waitcnt lgkmcnt(0)
	v_or_b32_e32 v2, s21, v6
	s_delay_alu instid0(VALU_DEP_1)
	v_cmpx_ne_u64_e32 0, v[1:2]
	s_xor_b32 s3, exec_lo, s2
	s_cbranch_execz .LBB0_4
; %bb.3:                                ;   in Loop: Header=BB0_2 Depth=1
	v_cvt_f32_u32_e32 v2, s20
	v_cvt_f32_u32_e32 v7, s21
	s_sub_u32 s2, 0, s20
	s_subb_u32 s22, 0, s21
	s_delay_alu instid0(VALU_DEP_1) | instskip(NEXT) | instid1(VALU_DEP_1)
	v_fmac_f32_e32 v2, 0x4f800000, v7
	v_rcp_f32_e32 v2, v2
	s_waitcnt_depctr 0xfff
	v_mul_f32_e32 v2, 0x5f7ffffc, v2
	s_delay_alu instid0(VALU_DEP_1) | instskip(NEXT) | instid1(VALU_DEP_1)
	v_mul_f32_e32 v7, 0x2f800000, v2
	v_trunc_f32_e32 v7, v7
	s_delay_alu instid0(VALU_DEP_1) | instskip(SKIP_1) | instid1(VALU_DEP_2)
	v_fmac_f32_e32 v2, 0xcf800000, v7
	v_cvt_u32_f32_e32 v7, v7
	v_cvt_u32_f32_e32 v2, v2
	s_delay_alu instid0(VALU_DEP_2) | instskip(NEXT) | instid1(VALU_DEP_2)
	v_mul_lo_u32 v8, s2, v7
	v_mul_hi_u32 v9, s2, v2
	v_mul_lo_u32 v10, s22, v2
	s_delay_alu instid0(VALU_DEP_2) | instskip(SKIP_1) | instid1(VALU_DEP_2)
	v_add_nc_u32_e32 v8, v9, v8
	v_mul_lo_u32 v9, s2, v2
	v_add_nc_u32_e32 v8, v8, v10
	s_delay_alu instid0(VALU_DEP_2) | instskip(NEXT) | instid1(VALU_DEP_2)
	v_mul_hi_u32 v10, v2, v9
	v_mul_lo_u32 v11, v2, v8
	v_mul_hi_u32 v12, v2, v8
	v_mul_hi_u32 v13, v7, v9
	v_mul_lo_u32 v9, v7, v9
	v_mul_hi_u32 v14, v7, v8
	v_mul_lo_u32 v8, v7, v8
	v_add_co_u32 v10, vcc_lo, v10, v11
	v_add_co_ci_u32_e32 v11, vcc_lo, 0, v12, vcc_lo
	s_delay_alu instid0(VALU_DEP_2) | instskip(NEXT) | instid1(VALU_DEP_2)
	v_add_co_u32 v9, vcc_lo, v10, v9
	v_add_co_ci_u32_e32 v9, vcc_lo, v11, v13, vcc_lo
	v_add_co_ci_u32_e32 v10, vcc_lo, 0, v14, vcc_lo
	s_delay_alu instid0(VALU_DEP_2) | instskip(NEXT) | instid1(VALU_DEP_2)
	v_add_co_u32 v8, vcc_lo, v9, v8
	v_add_co_ci_u32_e32 v9, vcc_lo, 0, v10, vcc_lo
	s_delay_alu instid0(VALU_DEP_2) | instskip(NEXT) | instid1(VALU_DEP_2)
	v_add_co_u32 v2, vcc_lo, v2, v8
	v_add_co_ci_u32_e32 v7, vcc_lo, v7, v9, vcc_lo
	s_delay_alu instid0(VALU_DEP_2) | instskip(SKIP_1) | instid1(VALU_DEP_3)
	v_mul_hi_u32 v8, s2, v2
	v_mul_lo_u32 v10, s22, v2
	v_mul_lo_u32 v9, s2, v7
	s_delay_alu instid0(VALU_DEP_1) | instskip(SKIP_1) | instid1(VALU_DEP_2)
	v_add_nc_u32_e32 v8, v8, v9
	v_mul_lo_u32 v9, s2, v2
	v_add_nc_u32_e32 v8, v8, v10
	s_delay_alu instid0(VALU_DEP_2) | instskip(NEXT) | instid1(VALU_DEP_2)
	v_mul_hi_u32 v10, v2, v9
	v_mul_lo_u32 v11, v2, v8
	v_mul_hi_u32 v12, v2, v8
	v_mul_hi_u32 v13, v7, v9
	v_mul_lo_u32 v9, v7, v9
	v_mul_hi_u32 v14, v7, v8
	v_mul_lo_u32 v8, v7, v8
	v_add_co_u32 v10, vcc_lo, v10, v11
	v_add_co_ci_u32_e32 v11, vcc_lo, 0, v12, vcc_lo
	s_delay_alu instid0(VALU_DEP_2) | instskip(NEXT) | instid1(VALU_DEP_2)
	v_add_co_u32 v9, vcc_lo, v10, v9
	v_add_co_ci_u32_e32 v9, vcc_lo, v11, v13, vcc_lo
	v_add_co_ci_u32_e32 v10, vcc_lo, 0, v14, vcc_lo
	s_delay_alu instid0(VALU_DEP_2) | instskip(NEXT) | instid1(VALU_DEP_2)
	v_add_co_u32 v8, vcc_lo, v9, v8
	v_add_co_ci_u32_e32 v9, vcc_lo, 0, v10, vcc_lo
	s_delay_alu instid0(VALU_DEP_2) | instskip(NEXT) | instid1(VALU_DEP_2)
	v_add_co_u32 v2, vcc_lo, v2, v8
	v_add_co_ci_u32_e32 v13, vcc_lo, v7, v9, vcc_lo
	s_delay_alu instid0(VALU_DEP_2) | instskip(SKIP_1) | instid1(VALU_DEP_3)
	v_mul_hi_u32 v14, v5, v2
	v_mad_u64_u32 v[9:10], null, v6, v2, 0
	v_mad_u64_u32 v[7:8], null, v5, v13, 0
	;; [unrolled: 1-line block ×3, first 2 shown]
	s_delay_alu instid0(VALU_DEP_2) | instskip(NEXT) | instid1(VALU_DEP_3)
	v_add_co_u32 v2, vcc_lo, v14, v7
	v_add_co_ci_u32_e32 v7, vcc_lo, 0, v8, vcc_lo
	s_delay_alu instid0(VALU_DEP_2) | instskip(NEXT) | instid1(VALU_DEP_2)
	v_add_co_u32 v2, vcc_lo, v2, v9
	v_add_co_ci_u32_e32 v2, vcc_lo, v7, v10, vcc_lo
	v_add_co_ci_u32_e32 v7, vcc_lo, 0, v12, vcc_lo
	s_delay_alu instid0(VALU_DEP_2) | instskip(NEXT) | instid1(VALU_DEP_2)
	v_add_co_u32 v2, vcc_lo, v2, v11
	v_add_co_ci_u32_e32 v9, vcc_lo, 0, v7, vcc_lo
	s_delay_alu instid0(VALU_DEP_2) | instskip(SKIP_1) | instid1(VALU_DEP_3)
	v_mul_lo_u32 v10, s21, v2
	v_mad_u64_u32 v[7:8], null, s20, v2, 0
	v_mul_lo_u32 v11, s20, v9
	s_delay_alu instid0(VALU_DEP_2) | instskip(NEXT) | instid1(VALU_DEP_2)
	v_sub_co_u32 v7, vcc_lo, v5, v7
	v_add3_u32 v8, v8, v11, v10
	s_delay_alu instid0(VALU_DEP_1) | instskip(NEXT) | instid1(VALU_DEP_1)
	v_sub_nc_u32_e32 v10, v6, v8
	v_subrev_co_ci_u32_e64 v10, s2, s21, v10, vcc_lo
	v_add_co_u32 v11, s2, v2, 2
	s_delay_alu instid0(VALU_DEP_1) | instskip(SKIP_3) | instid1(VALU_DEP_3)
	v_add_co_ci_u32_e64 v12, s2, 0, v9, s2
	v_sub_co_u32 v13, s2, v7, s20
	v_sub_co_ci_u32_e32 v8, vcc_lo, v6, v8, vcc_lo
	v_subrev_co_ci_u32_e64 v10, s2, 0, v10, s2
	v_cmp_le_u32_e32 vcc_lo, s20, v13
	s_delay_alu instid0(VALU_DEP_3) | instskip(SKIP_1) | instid1(VALU_DEP_4)
	v_cmp_eq_u32_e64 s2, s21, v8
	v_cndmask_b32_e64 v13, 0, -1, vcc_lo
	v_cmp_le_u32_e32 vcc_lo, s21, v10
	v_cndmask_b32_e64 v14, 0, -1, vcc_lo
	v_cmp_le_u32_e32 vcc_lo, s20, v7
	;; [unrolled: 2-line block ×3, first 2 shown]
	v_cndmask_b32_e64 v15, 0, -1, vcc_lo
	v_cmp_eq_u32_e32 vcc_lo, s21, v10
	s_delay_alu instid0(VALU_DEP_2) | instskip(SKIP_3) | instid1(VALU_DEP_3)
	v_cndmask_b32_e64 v7, v15, v7, s2
	v_cndmask_b32_e32 v10, v14, v13, vcc_lo
	v_add_co_u32 v13, vcc_lo, v2, 1
	v_add_co_ci_u32_e32 v14, vcc_lo, 0, v9, vcc_lo
	v_cmp_ne_u32_e32 vcc_lo, 0, v10
	s_delay_alu instid0(VALU_DEP_2) | instskip(NEXT) | instid1(VALU_DEP_4)
	v_cndmask_b32_e32 v8, v14, v12, vcc_lo
	v_cndmask_b32_e32 v10, v13, v11, vcc_lo
	v_cmp_ne_u32_e32 vcc_lo, 0, v7
	s_delay_alu instid0(VALU_DEP_2)
	v_dual_cndmask_b32 v7, v2, v10 :: v_dual_cndmask_b32 v8, v9, v8
.LBB0_4:                                ;   in Loop: Header=BB0_2 Depth=1
	s_and_not1_saveexec_b32 s2, s3
	s_cbranch_execz .LBB0_6
; %bb.5:                                ;   in Loop: Header=BB0_2 Depth=1
	v_cvt_f32_u32_e32 v2, s20
	s_sub_i32 s3, 0, s20
	s_delay_alu instid0(VALU_DEP_1) | instskip(SKIP_2) | instid1(VALU_DEP_1)
	v_rcp_iflag_f32_e32 v2, v2
	s_waitcnt_depctr 0xfff
	v_mul_f32_e32 v2, 0x4f7ffffe, v2
	v_cvt_u32_f32_e32 v2, v2
	s_delay_alu instid0(VALU_DEP_1) | instskip(NEXT) | instid1(VALU_DEP_1)
	v_mul_lo_u32 v7, s3, v2
	v_mul_hi_u32 v7, v2, v7
	s_delay_alu instid0(VALU_DEP_1) | instskip(NEXT) | instid1(VALU_DEP_1)
	v_add_nc_u32_e32 v2, v2, v7
	v_mul_hi_u32 v2, v5, v2
	s_delay_alu instid0(VALU_DEP_1) | instskip(SKIP_1) | instid1(VALU_DEP_2)
	v_mul_lo_u32 v7, v2, s20
	v_add_nc_u32_e32 v8, 1, v2
	v_sub_nc_u32_e32 v7, v5, v7
	s_delay_alu instid0(VALU_DEP_1) | instskip(SKIP_1) | instid1(VALU_DEP_2)
	v_subrev_nc_u32_e32 v9, s20, v7
	v_cmp_le_u32_e32 vcc_lo, s20, v7
	v_dual_cndmask_b32 v7, v7, v9 :: v_dual_cndmask_b32 v2, v2, v8
	s_delay_alu instid0(VALU_DEP_1) | instskip(NEXT) | instid1(VALU_DEP_2)
	v_cmp_le_u32_e32 vcc_lo, s20, v7
	v_add_nc_u32_e32 v8, 1, v2
	s_delay_alu instid0(VALU_DEP_1)
	v_dual_cndmask_b32 v7, v2, v8 :: v_dual_mov_b32 v8, v1
.LBB0_6:                                ;   in Loop: Header=BB0_2 Depth=1
	s_or_b32 exec_lo, exec_lo, s2
	s_load_b64 s[2:3], s[14:15], 0x0
	s_delay_alu instid0(VALU_DEP_1) | instskip(NEXT) | instid1(VALU_DEP_2)
	v_mul_lo_u32 v2, v8, s20
	v_mul_lo_u32 v11, v7, s21
	v_mad_u64_u32 v[9:10], null, v7, s20, 0
	s_add_u32 s18, s18, 1
	s_addc_u32 s19, s19, 0
	s_add_u32 s14, s14, 8
	s_addc_u32 s15, s15, 0
	;; [unrolled: 2-line block ×3, first 2 shown]
	s_delay_alu instid0(VALU_DEP_1) | instskip(SKIP_1) | instid1(VALU_DEP_2)
	v_add3_u32 v2, v10, v11, v2
	v_sub_co_u32 v9, vcc_lo, v5, v9
	v_sub_co_ci_u32_e32 v2, vcc_lo, v6, v2, vcc_lo
	s_waitcnt lgkmcnt(0)
	s_delay_alu instid0(VALU_DEP_2) | instskip(NEXT) | instid1(VALU_DEP_2)
	v_mul_lo_u32 v10, s3, v9
	v_mul_lo_u32 v2, s2, v2
	v_mad_u64_u32 v[5:6], null, s2, v9, v[3:4]
	v_cmp_ge_u64_e64 s2, s[18:19], s[6:7]
	s_delay_alu instid0(VALU_DEP_1) | instskip(NEXT) | instid1(VALU_DEP_2)
	s_and_b32 vcc_lo, exec_lo, s2
	v_add3_u32 v4, v10, v6, v2
	s_delay_alu instid0(VALU_DEP_3)
	v_mov_b32_e32 v3, v5
	s_cbranch_vccnz .LBB0_9
; %bb.7:                                ;   in Loop: Header=BB0_2 Depth=1
	v_dual_mov_b32 v5, v7 :: v_dual_mov_b32 v6, v8
	s_branch .LBB0_2
.LBB0_8:
	v_dual_mov_b32 v8, v6 :: v_dual_mov_b32 v7, v5
.LBB0_9:
	s_lshl_b64 s[2:3], s[6:7], 3
	v_mul_hi_u32 v1, 0x4104105, v0
	s_add_u32 s2, s12, s2
	s_addc_u32 s3, s13, s3
	s_load_b64 s[2:3], s[2:3], 0x0
	s_load_b64 s[0:1], s[0:1], 0x20
	s_delay_alu instid0(VALU_DEP_1) | instskip(NEXT) | instid1(VALU_DEP_1)
	v_mul_u32_u24_e32 v5, 63, v1
	v_sub_nc_u32_e32 v0, v0, v5
	s_delay_alu instid0(VALU_DEP_1)
	v_add_nc_u32_e32 v9, 63, v0
	s_waitcnt lgkmcnt(0)
	v_mul_lo_u32 v6, s2, v8
	v_mul_lo_u32 v10, s3, v7
	v_mad_u64_u32 v[1:2], null, s2, v7, v[3:4]
	v_cmp_gt_u64_e32 vcc_lo, s[0:1], v[7:8]
	v_cmp_le_u64_e64 s0, s[0:1], v[7:8]
	v_add_nc_u32_e32 v8, 0x7e, v0
                                        ; implicit-def: $vgpr4
	s_delay_alu instid0(VALU_DEP_4) | instskip(NEXT) | instid1(VALU_DEP_3)
	v_add3_u32 v2, v10, v2, v6
                                        ; implicit-def: $vgpr6
	s_and_saveexec_b32 s1, s0
	s_delay_alu instid0(SALU_CYCLE_1)
	s_xor_b32 s0, exec_lo, s1
; %bb.10:
	v_add_nc_u32_e32 v4, 63, v0
	v_add_nc_u32_e32 v6, 0x7e, v0
; %bb.11:
	s_or_saveexec_b32 s1, s0
	v_lshlrev_b64 v[2:3], 2, v[1:2]
                                        ; implicit-def: $vgpr21
                                        ; implicit-def: $vgpr16
                                        ; implicit-def: $vgpr39
                                        ; implicit-def: $vgpr12
                                        ; implicit-def: $vgpr36
                                        ; implicit-def: $vgpr13
                                        ; implicit-def: $vgpr31
                                        ; implicit-def: $vgpr10
                                        ; implicit-def: $vgpr38
                                        ; implicit-def: $vgpr18
                                        ; implicit-def: $vgpr37
                                        ; implicit-def: $vgpr20
                                        ; implicit-def: $vgpr33
                                        ; implicit-def: $vgpr17
                                        ; implicit-def: $vgpr35
                                        ; implicit-def: $vgpr1
                                        ; implicit-def: $vgpr34
                                        ; implicit-def: $vgpr11
                                        ; implicit-def: $vgpr7
                                        ; implicit-def: $vgpr5
                                        ; implicit-def: $vgpr23
                                        ; implicit-def: $vgpr30
                                        ; implicit-def: $vgpr32
                                        ; implicit-def: $vgpr22
	s_xor_b32 exec_lo, exec_lo, s1
	s_cbranch_execz .LBB0_15
; %bb.12:
	v_mad_u64_u32 v[10:11], null, s8, v0, 0
	v_add_nc_u32_e32 v7, 0xd2, v0
	v_add_nc_u32_e32 v20, 0x1a4, v0
	v_mad_u64_u32 v[16:17], null, s8, v9, 0
	s_mov_b32 s2, exec_lo
	s_delay_alu instid0(VALU_DEP_3) | instskip(SKIP_2) | instid1(VALU_DEP_2)
	v_mad_u64_u32 v[12:13], null, s8, v7, 0
	v_mov_b32_e32 v1, v11
	v_mad_u64_u32 v[14:15], null, s8, v20, 0
	v_mad_u64_u32 v[4:5], null, s9, v0, v[1:2]
	s_delay_alu instid0(VALU_DEP_4) | instskip(NEXT) | instid1(VALU_DEP_1)
	v_mov_b32_e32 v1, v13
	v_mad_u64_u32 v[5:6], null, s9, v7, v[1:2]
	s_delay_alu instid0(VALU_DEP_4) | instskip(SKIP_3) | instid1(VALU_DEP_4)
	v_mov_b32_e32 v1, v15
	v_add_nc_u32_e32 v7, 0x1e3, v0
	v_mov_b32_e32 v11, v4
	v_add_co_u32 v4, s0, s10, v2
	v_mad_u64_u32 v[18:19], null, s9, v20, v[1:2]
	v_mov_b32_e32 v13, v5
	v_add_nc_u32_e32 v5, 0x111, v0
	v_mov_b32_e32 v1, v17
	v_lshlrev_b64 v[10:11], 2, v[10:11]
	v_add_co_ci_u32_e64 v6, s0, s11, v3, s0
	v_mov_b32_e32 v15, v18
	v_mad_u64_u32 v[18:19], null, s8, v5, 0
	v_mad_u64_u32 v[20:21], null, s9, v9, v[1:2]
	v_lshlrev_b64 v[12:13], 2, v[12:13]
	v_add_co_u32 v10, s0, v4, v10
	v_lshlrev_b64 v[14:15], 2, v[14:15]
	v_mov_b32_e32 v1, v19
	v_add_co_ci_u32_e64 v11, s0, v6, v11, s0
	v_mov_b32_e32 v17, v20
	v_mad_u64_u32 v[20:21], null, s8, v7, 0
	s_delay_alu instid0(VALU_DEP_4)
	v_mad_u64_u32 v[22:23], null, s9, v5, v[1:2]
	v_mad_u64_u32 v[23:24], null, s8, v8, 0
	v_add_nc_u32_e32 v5, 0x150, v0
	v_add_co_u32 v12, s0, v4, v12
	v_mov_b32_e32 v1, v21
	v_mov_b32_e32 v19, v22
	s_delay_alu instid0(VALU_DEP_4) | instskip(SKIP_1) | instid1(VALU_DEP_4)
	v_mad_u64_u32 v[25:26], null, s8, v5, 0
	v_lshlrev_b64 v[16:17], 2, v[16:17]
	v_mad_u64_u32 v[21:22], null, s9, v7, v[1:2]
	v_mov_b32_e32 v1, v24
	v_add_nc_u32_e32 v7, 0x222, v0
	v_add_co_ci_u32_e64 v13, s0, v6, v13, s0
	v_add_co_u32 v14, s0, v4, v14
	s_delay_alu instid0(VALU_DEP_4) | instskip(NEXT) | instid1(VALU_DEP_4)
	v_mad_u64_u32 v[27:28], null, s9, v8, v[1:2]
	v_mad_u64_u32 v[28:29], null, s8, v7, 0
	v_add_co_ci_u32_e64 v15, s0, v6, v15, s0
	v_add_co_u32 v30, s0, v4, v16
	v_mov_b32_e32 v1, v26
	v_add_co_ci_u32_e64 v31, s0, v6, v17, s0
	v_lshlrev_b64 v[16:17], 2, v[18:19]
	v_mov_b32_e32 v24, v27
	s_delay_alu instid0(VALU_DEP_4) | instskip(SKIP_1) | instid1(VALU_DEP_4)
	v_mad_u64_u32 v[18:19], null, s9, v5, v[1:2]
	v_mov_b32_e32 v1, v29
                                        ; implicit-def: $vgpr5
	v_add_co_u32 v32, s0, v4, v16
	s_delay_alu instid0(VALU_DEP_1) | instskip(NEXT) | instid1(VALU_DEP_4)
	v_add_co_ci_u32_e64 v33, s0, v6, v17, s0
	v_mov_b32_e32 v26, v18
	v_lshlrev_b64 v[16:17], 2, v[20:21]
	v_mad_u64_u32 v[19:20], null, s9, v7, v[1:2]
	v_lshlrev_b64 v[20:21], 2, v[23:24]
                                        ; implicit-def: $vgpr7
	s_delay_alu instid0(VALU_DEP_3) | instskip(NEXT) | instid1(VALU_DEP_1)
	v_add_co_u32 v22, s0, v4, v16
	v_add_co_ci_u32_e64 v23, s0, v6, v17, s0
	s_delay_alu instid0(VALU_DEP_4) | instskip(SKIP_2) | instid1(VALU_DEP_1)
	v_mov_b32_e32 v29, v19
	v_lshlrev_b64 v[16:17], 2, v[25:26]
	v_add_co_u32 v24, s0, v4, v20
	v_add_co_ci_u32_e64 v25, s0, v6, v21, s0
	s_delay_alu instid0(VALU_DEP_4) | instskip(NEXT) | instid1(VALU_DEP_4)
	v_lshlrev_b64 v[18:19], 2, v[28:29]
	v_add_co_u32 v26, s0, v4, v16
	s_delay_alu instid0(VALU_DEP_1) | instskip(NEXT) | instid1(VALU_DEP_3)
	v_add_co_ci_u32_e64 v27, s0, v6, v17, s0
	v_add_co_u32 v28, s0, v4, v18
	s_delay_alu instid0(VALU_DEP_1)
	v_add_co_ci_u32_e64 v29, s0, v6, v19, s0
	s_clause 0x8
	global_load_b32 v16, v[10:11], off
	global_load_b32 v12, v[12:13], off
	;; [unrolled: 1-line block ×9, first 2 shown]
                                        ; implicit-def: $vgpr22
                                        ; implicit-def: $vgpr32
                                        ; implicit-def: $vgpr30
                                        ; implicit-def: $vgpr23
	v_cmpx_gt_u32_e32 21, v0
	s_cbranch_execz .LBB0_14
; %bb.13:
	v_add_nc_u32_e32 v19, 0xbd, v0
	v_add_nc_u32_e32 v27, 0x18f, v0
	s_delay_alu instid0(VALU_DEP_2) | instskip(SKIP_1) | instid1(VALU_DEP_3)
	v_mad_u64_u32 v[14:15], null, s8, v19, 0
	v_add_nc_u32_e32 v28, 0x261, v0
	v_mad_u64_u32 v[21:22], null, s8, v27, 0
	s_delay_alu instid0(VALU_DEP_3) | instskip(NEXT) | instid1(VALU_DEP_3)
	v_mov_b32_e32 v5, v15
	v_mad_u64_u32 v[23:24], null, s8, v28, 0
	s_delay_alu instid0(VALU_DEP_3) | instskip(NEXT) | instid1(VALU_DEP_2)
	v_mov_b32_e32 v7, v22
	v_mov_b32_e32 v15, v24
	s_delay_alu instid0(VALU_DEP_4) | instskip(NEXT) | instid1(VALU_DEP_3)
	v_mad_u64_u32 v[24:25], null, s9, v19, v[5:6]
	v_mad_u64_u32 v[25:26], null, s9, v27, v[7:8]
	s_waitcnt vmcnt(8)
	s_delay_alu instid0(VALU_DEP_3) | instskip(NEXT) | instid1(VALU_DEP_2)
	v_mad_u64_u32 v[26:27], null, s9, v28, v[15:16]
	v_dual_mov_b32 v15, v24 :: v_dual_mov_b32 v22, v25
	s_delay_alu instid0(VALU_DEP_2) | instskip(NEXT) | instid1(VALU_DEP_2)
	v_mov_b32_e32 v24, v26
	v_lshlrev_b64 v[14:15], 2, v[14:15]
	s_delay_alu instid0(VALU_DEP_3) | instskip(NEXT) | instid1(VALU_DEP_3)
	v_lshlrev_b64 v[21:22], 2, v[21:22]
	v_lshlrev_b64 v[23:24], 2, v[23:24]
	s_delay_alu instid0(VALU_DEP_3) | instskip(NEXT) | instid1(VALU_DEP_1)
	v_add_co_u32 v14, s0, v4, v14
	v_add_co_ci_u32_e64 v15, s0, v6, v15, s0
	s_delay_alu instid0(VALU_DEP_4) | instskip(NEXT) | instid1(VALU_DEP_1)
	v_add_co_u32 v21, s0, v4, v21
	v_add_co_ci_u32_e64 v22, s0, v6, v22, s0
	v_add_co_u32 v23, s0, v4, v23
	s_delay_alu instid0(VALU_DEP_1)
	v_add_co_ci_u32_e64 v24, s0, v6, v24, s0
	s_clause 0x2
	global_load_b32 v5, v[14:15], off
	global_load_b32 v22, v[21:22], off
	;; [unrolled: 1-line block ×3, first 2 shown]
	s_waitcnt vmcnt(2)
	v_lshrrev_b32_e32 v7, 16, v5
	s_waitcnt vmcnt(1)
	v_lshrrev_b32_e32 v32, 16, v22
	;; [unrolled: 2-line block ×3, first 2 shown]
.LBB0_14:
	s_or_b32 exec_lo, exec_lo, s2
	s_waitcnt vmcnt(8)
	v_lshrrev_b32_e32 v21, 16, v16
	s_waitcnt vmcnt(7)
	v_lshrrev_b32_e32 v39, 16, v12
	;; [unrolled: 2-line block ×9, first 2 shown]
	v_mov_b32_e32 v6, v8
	v_mov_b32_e32 v4, v9
.LBB0_15:
	s_or_b32 exec_lo, exec_lo, s1
	v_add_f16_e32 v14, v12, v13
	v_add_f16_e32 v24, v18, v20
	v_add_f16_e32 v15, v16, v12
	v_sub_f16_e32 v19, v39, v36
	v_sub_f16_e32 v25, v38, v37
	v_fmac_f16_e32 v16, -0.5, v14
	v_add_f16_e32 v14, v10, v18
	v_fmac_f16_e32 v10, -0.5, v24
	v_add_f16_e32 v26, v15, v13
	v_add_f16_e32 v15, v17, v1
	v_fmamk_f16 v24, v19, 0x3aee, v16
	v_fmac_f16_e32 v16, 0xbaee, v19
	v_add_f16_e32 v19, v14, v20
	v_add_f16_e32 v14, v1, v11
	v_fmamk_f16 v27, v25, 0x3aee, v10
	v_fmac_f16_e32 v10, 0xbaee, v25
	v_add_f16_e32 v25, v30, v22
	v_add_f16_e32 v28, v15, v11
	v_fmac_f16_e32 v17, -0.5, v14
	v_sub_f16_e32 v14, v35, v34
	v_add_f16_e32 v15, v5, v22
	v_fmac_f16_e32 v5, -0.5, v25
	v_sub_f16_e32 v25, v32, v23
	v_mad_u32_u24 v41, v0, 6, 0
	v_fmamk_f16 v29, v14, 0x3aee, v17
	v_fmac_f16_e32 v17, 0xbaee, v14
	v_add_f16_e32 v14, v30, v15
	v_fmamk_f16 v15, v25, 0x3aee, v5
	v_fmac_f16_e32 v5, 0xbaee, v25
	v_mad_i32_i24 v40, v4, 6, 0
	v_mad_i32_i24 v42, v6, 6, 0
	v_cmp_gt_u32_e64 s0, 21, v0
	ds_store_b16 v41, v26
	ds_store_b16 v41, v24 offset:2
	ds_store_b16 v41, v16 offset:4
	ds_store_b16 v40, v19
	ds_store_b16 v40, v27 offset:2
	ds_store_b16 v40, v10 offset:4
	;; [unrolled: 3-line block ×3, first 2 shown]
	s_and_saveexec_b32 s1, s0
	s_cbranch_execz .LBB0_17
; %bb.16:
	ds_store_b16 v41, v14 offset:1134
	ds_store_b16 v41, v15 offset:1136
	ds_store_b16 v41, v5 offset:1138
.LBB0_17:
	s_or_b32 exec_lo, exec_lo, s1
	v_lshlrev_b32_e32 v10, 2, v0
	v_lshlrev_b32_e32 v43, 2, v4
	;; [unrolled: 1-line block ×3, first 2 shown]
	s_waitcnt lgkmcnt(0)
	s_barrier
	v_sub_nc_u32_e32 v10, v41, v10
	v_sub_nc_u32_e32 v19, v40, v43
	;; [unrolled: 1-line block ×3, first 2 shown]
	buffer_gl0_inv
	ds_load_u16 v17, v10
	ds_load_u16 v27, v10 offset:420
	ds_load_u16 v26, v10 offset:546
	;; [unrolled: 1-line block ×3, first 2 shown]
	ds_load_u16 v16, v16
	ds_load_u16 v19, v19
	ds_load_u16 v25, v10 offset:1092
	ds_load_u16 v29, v10 offset:840
	;; [unrolled: 1-line block ×3, first 2 shown]
	s_and_saveexec_b32 s1, s0
	s_cbranch_execz .LBB0_19
; %bb.18:
	ds_load_u16 v14, v10 offset:378
	ds_load_u16 v15, v10 offset:798
	;; [unrolled: 1-line block ×3, first 2 shown]
.LBB0_19:
	s_or_b32 exec_lo, exec_lo, s1
	v_add_f16_e32 v45, v39, v36
	v_add_f16_e32 v46, v21, v39
	v_sub_nc_u32_e32 v39, 0, v44
	v_add_f16_e32 v44, v38, v37
	v_sub_f16_e32 v12, v12, v13
	v_fmac_f16_e32 v21, -0.5, v45
	v_add_f16_e32 v13, v46, v36
	v_add_f16_e32 v36, v31, v38
	v_fmac_f16_e32 v31, -0.5, v44
	v_sub_f16_e32 v18, v18, v20
	v_fmamk_f16 v20, v12, 0xbaee, v21
	v_fmac_f16_e32 v21, 0x3aee, v12
	v_add_f16_e32 v12, v36, v37
	v_add_f16_e32 v36, v35, v34
	v_fmamk_f16 v37, v18, 0xbaee, v31
	v_fmac_f16_e32 v31, 0x3aee, v18
	v_add_f16_e32 v18, v23, v32
	v_sub_f16_e32 v1, v1, v11
	v_add_f16_e32 v11, v7, v32
	v_sub_f16_e32 v22, v22, v30
	v_sub_nc_u32_e32 v43, 0, v43
	v_fmac_f16_e32 v7, -0.5, v18
	v_add_f16_e32 v35, v33, v35
	v_fmac_f16_e32 v33, -0.5, v36
	v_add_f16_e32 v18, v23, v11
	s_waitcnt lgkmcnt(0)
	v_fmamk_f16 v30, v22, 0xbaee, v7
	v_fmac_f16_e32 v7, 0x3aee, v22
	v_add_f16_e32 v32, v35, v34
	v_fmamk_f16 v34, v1, 0xbaee, v33
	v_fmac_f16_e32 v33, 0x3aee, v1
	s_barrier
	buffer_gl0_inv
	ds_store_b16 v41, v13
	ds_store_b16 v41, v20 offset:2
	ds_store_b16 v41, v21 offset:4
	ds_store_b16 v40, v12
	ds_store_b16 v40, v37 offset:2
	ds_store_b16 v40, v31 offset:4
	;; [unrolled: 3-line block ×3, first 2 shown]
	s_and_saveexec_b32 s1, s0
	s_cbranch_execz .LBB0_21
; %bb.20:
	ds_store_b16 v41, v18 offset:1134
	ds_store_b16 v41, v30 offset:1136
	;; [unrolled: 1-line block ×3, first 2 shown]
.LBB0_21:
	s_or_b32 exec_lo, exec_lo, s1
	v_add_nc_u32_e32 v13, v42, v39
	s_waitcnt lgkmcnt(0)
	s_barrier
	buffer_gl0_inv
	v_add_nc_u32_e32 v12, v40, v43
	ds_load_u16 v22, v10
	ds_load_u16 v34, v10 offset:420
	ds_load_u16 v33, v10 offset:546
	;; [unrolled: 1-line block ×3, first 2 shown]
	ds_load_u16 v21, v13
	ds_load_u16 v23, v12
	ds_load_u16 v31, v10 offset:1092
	ds_load_u16 v36, v10 offset:840
	;; [unrolled: 1-line block ×3, first 2 shown]
	s_and_saveexec_b32 s1, s0
	s_cbranch_execz .LBB0_23
; %bb.22:
	ds_load_u16 v18, v10 offset:378
	ds_load_u16 v30, v10 offset:798
	;; [unrolled: 1-line block ×3, first 2 shown]
.LBB0_23:
	s_or_b32 exec_lo, exec_lo, s1
	v_and_b32_e32 v20, 0xff, v0
	v_and_b32_e32 v1, 0xff, v4
	;; [unrolled: 1-line block ×3, first 2 shown]
	s_delay_alu instid0(VALU_DEP_3) | instskip(NEXT) | instid1(VALU_DEP_3)
	v_mul_lo_u16 v37, 0xab, v20
	v_mul_lo_u16 v38, 0xab, v1
	s_delay_alu instid0(VALU_DEP_3) | instskip(SKIP_1) | instid1(VALU_DEP_4)
	v_mul_lo_u16 v39, 0xab, v11
	v_add_nc_u32_e32 v11, 0xbd, v0
	v_lshrrev_b16 v37, 9, v37
	s_delay_alu instid0(VALU_DEP_4) | instskip(NEXT) | instid1(VALU_DEP_4)
	v_lshrrev_b16 v38, 9, v38
	v_lshrrev_b16 v39, 9, v39
	s_delay_alu instid0(VALU_DEP_4) | instskip(NEXT) | instid1(VALU_DEP_4)
	v_and_b32_e32 v42, 0xff, v11
	v_mul_lo_u16 v40, v37, 3
	s_delay_alu instid0(VALU_DEP_4) | instskip(NEXT) | instid1(VALU_DEP_4)
	v_mul_lo_u16 v41, v38, 3
	v_mul_lo_u16 v43, v39, 3
	s_delay_alu instid0(VALU_DEP_4)
	v_mul_lo_u16 v42, 0xab, v42
	v_and_b32_e32 v37, 0xffff, v37
	v_sub_nc_u16 v40, v0, v40
	v_sub_nc_u16 v41, v4, v41
	;; [unrolled: 1-line block ×3, first 2 shown]
	v_lshrrev_b16 v42, 9, v42
	v_and_b32_e32 v38, 0xffff, v38
	v_and_b32_e32 v40, 0xff, v40
	;; [unrolled: 1-line block ×4, first 2 shown]
	v_mul_lo_u16 v46, v42, 3
	v_and_b32_e32 v39, 0xffff, v39
	v_lshlrev_b32_e32 v44, 3, v40
	v_lshlrev_b32_e32 v45, 3, v41
	;; [unrolled: 1-line block ×3, first 2 shown]
	v_mul_u32_u24_e32 v38, 18, v38
	v_mul_u32_u24_e32 v39, 18, v39
	s_clause 0x1
	global_load_b64 v[49:50], v44, s[4:5]
	global_load_b64 v[51:52], v45, s[4:5]
	v_sub_nc_u16 v44, v11, v46
	global_load_b64 v[53:54], v47, s[4:5]
	v_lshlrev_b32_e32 v40, 1, v40
	v_lshlrev_b32_e32 v46, 1, v41
	;; [unrolled: 1-line block ×3, first 2 shown]
	v_and_b32_e32 v44, 0xff, v44
	s_delay_alu instid0(VALU_DEP_2) | instskip(NEXT) | instid1(VALU_DEP_2)
	v_add3_u32 v39, 0, v39, v43
	v_lshlrev_b32_e32 v45, 3, v44
	global_load_b64 v[55:56], v45, s[4:5]
	v_mul_u32_u24_e32 v45, 18, v37
	v_and_b32_e32 v37, 0xffff, v42
	s_waitcnt vmcnt(0) lgkmcnt(0)
	s_barrier
	buffer_gl0_inv
	v_add3_u32 v41, 0, v45, v40
	v_add3_u32 v40, 0, v38, v46
	v_lshlrev_b32_e32 v38, 1, v44
	v_lshrrev_b32_e32 v42, 16, v49
	v_lshrrev_b32_e32 v43, 16, v50
	v_lshrrev_b32_e32 v44, 16, v51
	v_lshrrev_b32_e32 v48, 16, v52
	v_lshrrev_b32_e32 v57, 16, v53
	v_lshrrev_b32_e32 v58, 16, v54
	v_mul_f16_e32 v59, v34, v42
	v_mul_f16_e32 v47, v27, v42
	;; [unrolled: 1-line block ×12, first 2 shown]
	v_lshrrev_b32_e32 v58, 16, v55
	v_lshrrev_b32_e32 v64, 16, v56
	v_fma_f16 v48, v27, v49, -v59
	v_fmac_f16_e32 v47, v34, v49
	v_fma_f16 v49, v29, v50, -v60
	v_fma_f16 v29, v24, v52, -v62
	v_fmac_f16_e32 v44, v32, v52
	v_fma_f16 v24, v28, v53, -v63
	v_mul_f16_e32 v28, v30, v58
	v_mul_f16_e32 v32, v7, v64
	v_fma_f16 v27, v26, v51, -v61
	v_fmac_f16_e32 v46, v33, v51
	v_fmac_f16_e32 v43, v35, v53
	v_fma_f16 v26, v25, v54, -v57
	v_mul_f16_e32 v33, v15, v58
	v_mul_f16_e32 v25, v5, v64
	v_fma_f16 v34, v15, v55, -v28
	v_fma_f16 v35, v5, v56, -v32
	v_add_f16_e32 v5, v17, v48
	v_fmac_f16_e32 v33, v30, v55
	v_fmac_f16_e32 v25, v7, v56
	v_add_f16_e32 v30, v27, v29
	v_add_f16_e32 v32, v16, v24
	;; [unrolled: 1-line block ×4, first 2 shown]
	v_fmac_f16_e32 v45, v36, v50
	v_add_f16_e32 v7, v48, v49
	v_fmac_f16_e32 v42, v31, v54
	v_add_f16_e32 v28, v19, v27
	v_add_f16_e32 v36, v24, v26
	v_fmac_f16_e32 v19, -0.5, v30
	v_add_f16_e32 v30, v32, v26
	v_sub_f16_e32 v32, v33, v25
	v_fma_f16 v5, -0.5, v5, v14
	v_sub_f16_e32 v15, v47, v45
	v_fmac_f16_e32 v17, -0.5, v7
	v_sub_f16_e32 v31, v46, v44
	v_sub_f16_e32 v50, v43, v42
	v_fmac_f16_e32 v16, -0.5, v36
	v_fmamk_f16 v7, v32, 0x3aee, v5
	v_fmac_f16_e32 v5, 0xbaee, v32
	v_fmamk_f16 v36, v15, 0x3aee, v17
	v_fmac_f16_e32 v17, 0xbaee, v15
	v_add_f16_e32 v28, v28, v29
	v_fmamk_f16 v15, v31, 0x3aee, v19
	v_fmac_f16_e32 v19, 0xbaee, v31
	v_fmamk_f16 v31, v50, 0x3aee, v16
	v_fmac_f16_e32 v16, 0xbaee, v50
	ds_store_b16 v41, v51
	ds_store_b16 v41, v36 offset:6
	ds_store_b16 v41, v17 offset:12
	ds_store_b16 v40, v28
	ds_store_b16 v40, v15 offset:6
	ds_store_b16 v40, v19 offset:12
	;; [unrolled: 3-line block ×3, first 2 shown]
	s_and_saveexec_b32 s1, s0
	s_cbranch_execz .LBB0_25
; %bb.24:
	v_add_f16_e32 v14, v14, v34
	v_mul_u32_u24_e32 v15, 18, v37
	s_delay_alu instid0(VALU_DEP_2) | instskip(NEXT) | instid1(VALU_DEP_2)
	v_add_f16_e32 v14, v14, v35
	v_add3_u32 v15, 0, v15, v38
	ds_store_b16 v15, v14
	ds_store_b16 v15, v7 offset:6
	ds_store_b16 v15, v5 offset:12
.LBB0_25:
	s_or_b32 exec_lo, exec_lo, s1
	v_add_f16_e32 v14, v47, v45
	v_add_f16_e32 v15, v22, v47
	;; [unrolled: 1-line block ×3, first 2 shown]
	v_sub_f16_e32 v16, v48, v49
	v_sub_f16_e32 v36, v27, v29
	v_fmac_f16_e32 v22, -0.5, v14
	v_add_f16_e32 v14, v23, v46
	v_add_f16_e32 v45, v15, v45
	;; [unrolled: 1-line block ×3, first 2 shown]
	v_fmac_f16_e32 v23, -0.5, v17
	v_add_f16_e32 v17, v21, v43
	v_add_f16_e32 v44, v14, v44
	;; [unrolled: 1-line block ×3, first 2 shown]
	v_fmac_f16_e32 v21, -0.5, v15
	v_fmamk_f16 v46, v16, 0xbaee, v22
	v_fmac_f16_e32 v22, 0x3aee, v16
	v_sub_f16_e32 v43, v24, v26
	v_fma_f16 v15, -0.5, v14, v18
	v_lshl_add_u32 v14, v0, 1, 0
	s_waitcnt lgkmcnt(0)
	s_barrier
	buffer_gl0_inv
	ds_load_u16 v27, v13
	ds_load_u16 v16, v12
	ds_load_u16 v24, v10
	ds_load_u16 v26, v10 offset:378
	ds_load_u16 v30, v14 offset:504
	;; [unrolled: 1-line block ×7, first 2 shown]
	v_sub_f16_e32 v34, v34, v35
	v_add_f16_e32 v35, v17, v42
	v_fmamk_f16 v47, v36, 0xbaee, v23
	v_fmac_f16_e32 v23, 0x3aee, v36
	v_fmamk_f16 v36, v43, 0xbaee, v21
	v_fmamk_f16 v17, v34, 0xbaee, v15
	v_fmac_f16_e32 v15, 0x3aee, v34
	v_fmac_f16_e32 v21, 0x3aee, v43
	s_waitcnt lgkmcnt(0)
	s_barrier
	buffer_gl0_inv
	ds_store_b16 v41, v45
	ds_store_b16 v41, v46 offset:6
	ds_store_b16 v41, v22 offset:12
	ds_store_b16 v40, v44
	ds_store_b16 v40, v47 offset:6
	ds_store_b16 v40, v23 offset:12
	;; [unrolled: 3-line block ×3, first 2 shown]
	s_and_saveexec_b32 s1, s0
	s_cbranch_execz .LBB0_27
; %bb.26:
	v_add_f16_e32 v18, v18, v33
	v_mul_u32_u24_e32 v21, 18, v37
	s_delay_alu instid0(VALU_DEP_2) | instskip(NEXT) | instid1(VALU_DEP_2)
	v_add_f16_e32 v18, v18, v25
	v_add3_u32 v21, 0, v21, v38
	ds_store_b16 v21, v18
	ds_store_b16 v21, v17 offset:6
	ds_store_b16 v21, v15 offset:12
.LBB0_27:
	s_or_b32 exec_lo, exec_lo, s1
	v_mul_lo_u16 v18, v20, 57
	v_mul_lo_u16 v20, v1, 57
	s_waitcnt lgkmcnt(0)
	s_barrier
	buffer_gl0_inv
	v_lshrrev_b16 v33, 9, v18
	v_lshrrev_b16 v34, 9, v20
	v_cmp_gt_u32_e64 s0, 27, v0
	s_delay_alu instid0(VALU_DEP_3) | instskip(NEXT) | instid1(VALU_DEP_3)
	v_mul_lo_u16 v18, v33, 9
	v_mul_lo_u16 v20, v34, 9
	v_and_b32_e32 v33, 0xffff, v33
	v_and_b32_e32 v34, 0xffff, v34
	s_delay_alu instid0(VALU_DEP_4) | instskip(NEXT) | instid1(VALU_DEP_4)
	v_sub_nc_u16 v18, v0, v18
	v_sub_nc_u16 v20, v4, v20
	s_delay_alu instid0(VALU_DEP_4) | instskip(NEXT) | instid1(VALU_DEP_4)
	v_mul_u32_u24_e32 v33, 0x5a, v33
	v_mul_u32_u24_e32 v37, 0x5a, v34
	s_delay_alu instid0(VALU_DEP_4) | instskip(NEXT) | instid1(VALU_DEP_4)
	v_and_b32_e32 v35, 0xff, v18
	v_and_b32_e32 v36, 0xff, v20
	s_delay_alu instid0(VALU_DEP_2) | instskip(NEXT) | instid1(VALU_DEP_2)
	v_lshlrev_b32_e32 v18, 4, v35
	v_lshlrev_b32_e32 v25, 4, v36
	;; [unrolled: 1-line block ×4, first 2 shown]
	s_clause 0x1
	global_load_b128 v[20:23], v18, s[4:5] offset:24
	global_load_b128 v[49:52], v25, s[4:5] offset:24
	ds_load_u16 v40, v13
	ds_load_u16 v18, v12
	;; [unrolled: 1-line block ×3, first 2 shown]
	ds_load_u16 v45, v10 offset:378
	ds_load_u16 v44, v14 offset:504
	;; [unrolled: 1-line block ×7, first 2 shown]
	v_add3_u32 v34, 0, v33, v34
	v_add3_u32 v33, 0, v37, v35
	s_waitcnt vmcnt(0) lgkmcnt(0)
	s_barrier
	buffer_gl0_inv
	v_lshrrev_b32_e32 v36, 16, v21
	v_lshrrev_b32_e32 v37, 16, v22
	;; [unrolled: 1-line block ×8, first 2 shown]
	v_mul_f16_e32 v60, v44, v36
	v_mul_f16_e32 v61, v48, v37
	;; [unrolled: 1-line block ×15, first 2 shown]
	v_fma_f16 v47, v30, v21, -v60
	v_fma_f16 v32, v32, v22, -v61
	;; [unrolled: 1-line block ×3, first 2 shown]
	v_fmac_f16_e32 v42, v48, v22
	v_fma_f16 v48, v31, v23, -v62
	v_mul_f16_e32 v35, v19, v58
	v_fmac_f16_e32 v39, v40, v20
	v_fmac_f16_e32 v41, v44, v21
	v_fma_f16 v44, v26, v49, -v63
	v_fmac_f16_e32 v36, v45, v49
	v_fma_f16 v20, v29, v50, -v64
	v_fma_f16 v40, v28, v51, -v65
	;; [unrolled: 1-line block ×3, first 2 shown]
	v_fmac_f16_e32 v43, v54, v23
	v_add_f16_e32 v21, v47, v32
	v_add_f16_e32 v28, v46, v48
	v_fmac_f16_e32 v37, v56, v50
	v_fmac_f16_e32 v38, v55, v51
	;; [unrolled: 1-line block ×3, first 2 shown]
	v_add_f16_e32 v19, v24, v46
	v_add_f16_e32 v49, v20, v40
	;; [unrolled: 1-line block ×3, first 2 shown]
	v_sub_f16_e32 v22, v39, v43
	v_fma_f16 v57, -0.5, v21, v24
	v_sub_f16_e32 v23, v41, v42
	v_sub_f16_e32 v26, v46, v47
	;; [unrolled: 1-line block ×7, first 2 shown]
	v_fmac_f16_e32 v24, -0.5, v28
	v_add_f16_e32 v31, v16, v44
	v_sub_f16_e32 v50, v36, v35
	v_sub_f16_e32 v51, v37, v38
	v_add_f16_e32 v19, v19, v47
	v_fma_f16 v21, -0.5, v49, v16
	v_fmac_f16_e32 v16, -0.5, v54
	v_fmamk_f16 v49, v22, 0x3b9c, v57
	v_add_f16_e32 v26, v26, v27
	v_add_f16_e32 v27, v29, v30
	;; [unrolled: 1-line block ×3, first 2 shown]
	v_fmamk_f16 v52, v23, 0xbb9c, v24
	v_fmac_f16_e32 v24, 0x3b9c, v23
	v_fmac_f16_e32 v57, 0xbb9c, v22
	v_sub_f16_e32 v55, v20, v44
	v_sub_f16_e32 v56, v40, v45
	v_add_f16_e32 v28, v31, v20
	v_add_f16_e32 v31, v19, v32
	v_fmamk_f16 v53, v50, 0x3b9c, v21
	v_fmac_f16_e32 v21, 0xbb9c, v50
	v_fmamk_f16 v19, v51, 0xbb9c, v16
	v_fmac_f16_e32 v16, 0x3b9c, v51
	v_fmac_f16_e32 v49, 0x38b4, v23
	;; [unrolled: 1-line block ×5, first 2 shown]
	v_add_f16_e32 v30, v55, v56
	v_add_f16_e32 v28, v28, v40
	;; [unrolled: 1-line block ×3, first 2 shown]
	v_fmac_f16_e32 v53, 0x38b4, v51
	v_fmac_f16_e32 v21, 0xb8b4, v51
	;; [unrolled: 1-line block ×8, first 2 shown]
	v_add_f16_e32 v22, v28, v45
	v_fmac_f16_e32 v53, 0x34f2, v29
	v_fmac_f16_e32 v21, 0x34f2, v29
	v_fmac_f16_e32 v19, 0x34f2, v30
	v_fmac_f16_e32 v16, 0x34f2, v30
	ds_store_b16 v34, v31
	ds_store_b16 v34, v49 offset:18
	ds_store_b16 v34, v52 offset:36
	;; [unrolled: 1-line block ×4, first 2 shown]
	ds_store_b16 v33, v22
	ds_store_b16 v33, v53 offset:18
	ds_store_b16 v33, v19 offset:36
	;; [unrolled: 1-line block ×4, first 2 shown]
	s_waitcnt lgkmcnt(0)
	s_barrier
	buffer_gl0_inv
	ds_load_u16 v24, v10
	ds_load_u16 v31, v10 offset:180
	ds_load_u16 v30, v10 offset:360
	;; [unrolled: 1-line block ×6, first 2 shown]
                                        ; implicit-def: $vgpr22
                                        ; implicit-def: $vgpr23
	s_and_saveexec_b32 s1, s0
	s_cbranch_execz .LBB0_29
; %bb.28:
	ds_load_u16 v16, v10 offset:306
	ds_load_u16 v21, v10 offset:486
	;; [unrolled: 1-line block ×5, first 2 shown]
	ds_load_u16 v19, v12
	ds_load_u16 v22, v10 offset:1206
.LBB0_29:
	s_or_b32 exec_lo, exec_lo, s1
	v_add_f16_e32 v49, v41, v42
	v_add_f16_e32 v50, v25, v39
	v_sub_f16_e32 v46, v46, v48
	v_sub_f16_e32 v32, v47, v32
	;; [unrolled: 1-line block ×3, first 2 shown]
	v_fma_f16 v47, -0.5, v49, v25
	v_sub_f16_e32 v49, v43, v42
	v_add_f16_e32 v51, v39, v43
	v_add_f16_e32 v50, v50, v41
	v_sub_f16_e32 v39, v41, v39
	v_fmamk_f16 v52, v46, 0xbb9c, v47
	v_add_f16_e32 v48, v48, v49
	v_fmac_f16_e32 v25, -0.5, v51
	v_add_f16_e32 v49, v50, v42
	v_fmac_f16_e32 v47, 0x3b9c, v46
	v_add_f16_e32 v50, v37, v38
	v_sub_f16_e32 v41, v42, v43
	v_fmamk_f16 v51, v32, 0x3b9c, v25
	v_add_f16_e32 v49, v49, v43
	v_fmac_f16_e32 v25, 0xbb9c, v32
	v_add_f16_e32 v42, v18, v36
	v_sub_f16_e32 v43, v44, v45
	v_add_f16_e32 v44, v36, v35
	v_fmac_f16_e32 v52, 0xb8b4, v32
	v_fmac_f16_e32 v47, 0x38b4, v32
	v_fma_f16 v32, -0.5, v50, v18
	v_fmac_f16_e32 v51, 0xb8b4, v46
	v_add_f16_e32 v39, v39, v41
	v_fmac_f16_e32 v25, 0x38b4, v46
	v_add_f16_e32 v41, v42, v37
	v_sub_f16_e32 v40, v20, v40
	v_fmac_f16_e32 v18, -0.5, v44
	v_fmamk_f16 v42, v43, 0xbb9c, v32
	v_fmac_f16_e32 v51, 0x34f2, v39
	v_fmac_f16_e32 v25, 0x34f2, v39
	v_add_f16_e32 v39, v41, v38
	v_sub_f16_e32 v41, v36, v37
	v_sub_f16_e32 v44, v35, v38
	v_fmac_f16_e32 v32, 0x3b9c, v43
	v_fmamk_f16 v20, v40, 0x3b9c, v18
	v_sub_f16_e32 v36, v37, v36
	v_sub_f16_e32 v37, v38, v35
	v_fmac_f16_e32 v18, 0xbb9c, v40
	v_fmac_f16_e32 v42, 0xb8b4, v40
	v_add_f16_e32 v38, v41, v44
	v_fmac_f16_e32 v32, 0x38b4, v40
	v_fmac_f16_e32 v20, 0xb8b4, v43
	v_add_f16_e32 v36, v36, v37
	v_fmac_f16_e32 v18, 0x38b4, v43
	v_fmac_f16_e32 v52, 0x34f2, v48
	;; [unrolled: 1-line block ×3, first 2 shown]
	v_add_f16_e32 v35, v39, v35
	v_fmac_f16_e32 v42, 0x34f2, v38
	v_fmac_f16_e32 v32, 0x34f2, v38
	;; [unrolled: 1-line block ×4, first 2 shown]
	s_waitcnt lgkmcnt(0)
	s_barrier
	buffer_gl0_inv
	ds_store_b16 v34, v49
	ds_store_b16 v34, v52 offset:18
	ds_store_b16 v34, v51 offset:36
	;; [unrolled: 1-line block ×4, first 2 shown]
	ds_store_b16 v33, v35
	ds_store_b16 v33, v42 offset:18
	ds_store_b16 v33, v20 offset:36
	;; [unrolled: 1-line block ×4, first 2 shown]
	s_waitcnt lgkmcnt(0)
	s_barrier
	buffer_gl0_inv
	ds_load_u16 v25, v10
	ds_load_u16 v41, v10 offset:180
	ds_load_u16 v40, v10 offset:360
	;; [unrolled: 1-line block ×6, first 2 shown]
                                        ; implicit-def: $vgpr34
                                        ; implicit-def: $vgpr35
	s_and_saveexec_b32 s1, s0
	s_cbranch_execz .LBB0_31
; %bb.30:
	ds_load_u16 v18, v10 offset:306
	ds_load_u16 v32, v10 offset:486
	;; [unrolled: 1-line block ×5, first 2 shown]
	ds_load_u16 v20, v12
	ds_load_u16 v34, v10 offset:1206
.LBB0_31:
	s_or_b32 exec_lo, exec_lo, s1
	v_subrev_nc_u32_e32 v33, 45, v0
	v_cmp_gt_u32_e64 s1, 45, v0
	v_mov_b32_e32 v43, 0
	v_mul_lo_u16 v1, 0x6d, v1
	s_delay_alu instid0(VALU_DEP_3) | instskip(NEXT) | instid1(VALU_DEP_2)
	v_cndmask_b32_e64 v33, v33, v0, s1
	v_lshrrev_b16 v1, 8, v1
	s_delay_alu instid0(VALU_DEP_2) | instskip(SKIP_1) | instid1(VALU_DEP_2)
	v_mul_i32_i24_e32 v42, 6, v33
	v_lshlrev_b32_e32 v33, 1, v33
	v_lshlrev_b64 v[42:43], 2, v[42:43]
	s_delay_alu instid0(VALU_DEP_1) | instskip(NEXT) | instid1(VALU_DEP_1)
	v_add_co_u32 v42, s1, s4, v42
	v_add_co_ci_u32_e64 v43, s1, s5, v43, s1
	v_cmp_lt_u32_e64 s1, 44, v0
	s_clause 0x1
	global_load_b128 v[49:52], v[42:43], off offset:168
	global_load_b64 v[57:58], v[42:43], off offset:184
	v_sub_nc_u16 v42, v4, v1
	s_delay_alu instid0(VALU_DEP_1) | instskip(NEXT) | instid1(VALU_DEP_1)
	v_lshrrev_b16 v42, 1, v42
	v_and_b32_e32 v42, 0x7f, v42
	s_delay_alu instid0(VALU_DEP_1) | instskip(NEXT) | instid1(VALU_DEP_1)
	v_add_nc_u16 v1, v42, v1
	v_lshrrev_b16 v1, 5, v1
	s_delay_alu instid0(VALU_DEP_1) | instskip(NEXT) | instid1(VALU_DEP_1)
	v_mul_lo_u16 v1, v1, 45
	v_sub_nc_u16 v1, v4, v1
	s_delay_alu instid0(VALU_DEP_1) | instskip(NEXT) | instid1(VALU_DEP_1)
	v_and_b32_e32 v1, 0xff, v1
	v_mul_u32_u24_e32 v42, 6, v1
	v_lshl_add_u32 v1, v1, 1, 0
	s_delay_alu instid0(VALU_DEP_2)
	v_lshlrev_b32_e32 v42, 2, v42
	s_clause 0x1
	global_load_b128 v[53:56], v42, s[4:5] offset:168
	global_load_b64 v[59:60], v42, s[4:5] offset:184
	v_cndmask_b32_e64 v42, 0, 0x276, s1
	s_waitcnt vmcnt(0) lgkmcnt(0)
	s_barrier
	buffer_gl0_inv
	v_add3_u32 v33, 0, v42, v33
	v_lshrrev_b32_e32 v42, 16, v49
	v_lshrrev_b32_e32 v44, 16, v50
	;; [unrolled: 1-line block ×6, first 2 shown]
	v_mul_f16_e32 v61, v41, v42
	v_mul_f16_e32 v43, v31, v42
	;; [unrolled: 1-line block ×12, first 2 shown]
	v_fma_f16 v47, v31, v49, -v61
	v_fmac_f16_e32 v43, v41, v49
	v_fma_f16 v41, v30, v50, -v62
	v_fmac_f16_e32 v44, v40, v50
	v_fma_f16 v50, v29, v58, -v66
	v_fma_f16 v49, v26, v57, -v65
	;; [unrolled: 1-line block ×3, first 2 shown]
	v_fmac_f16_e32 v42, v39, v51
	v_fma_f16 v39, v27, v52, -v64
	v_fmac_f16_e32 v48, v38, v58
	v_fmac_f16_e32 v45, v36, v52
	;; [unrolled: 1-line block ×3, first 2 shown]
	v_add_f16_e32 v26, v47, v50
	v_add_f16_e32 v27, v41, v49
	v_sub_f16_e32 v28, v43, v48
	v_add_f16_e32 v29, v40, v39
	v_sub_f16_e32 v30, v44, v46
	v_sub_f16_e32 v31, v45, v42
	v_add_f16_e32 v36, v27, v26
	v_sub_f16_e32 v37, v27, v26
	v_sub_f16_e32 v26, v26, v29
	;; [unrolled: 1-line block ×3, first 2 shown]
	v_add_f16_e32 v38, v31, v30
	v_sub_f16_e32 v51, v31, v30
	v_sub_f16_e32 v30, v30, v28
	v_add_f16_e32 v29, v29, v36
	v_sub_f16_e32 v31, v28, v31
	v_add_f16_e32 v28, v38, v28
	v_mul_f16_e32 v26, 0x3a52, v26
	v_mul_f16_e32 v36, 0x2b26, v27
	;; [unrolled: 1-line block ×4, first 2 shown]
	v_add_f16_e32 v24, v24, v29
	v_fmamk_f16 v52, v27, 0x2b26, v26
	v_fma_f16 v57, v37, 0x39e0, -v36
	v_fma_f16 v37, v37, 0xb9e0, -v26
	v_fmamk_f16 v58, v31, 0x3574, v38
	v_fma_f16 v38, v30, 0x3b00, -v38
	v_fma_f16 v51, v31, 0xb574, -v51
	v_lshrrev_b32_e32 v26, 16, v53
	v_lshrrev_b32_e32 v30, 16, v54
	;; [unrolled: 1-line block ×6, first 2 shown]
	v_fmamk_f16 v63, v29, 0xbcab, v24
	v_fmac_f16_e32 v58, 0x370e, v28
	v_fmac_f16_e32 v38, 0x370e, v28
	;; [unrolled: 1-line block ×3, first 2 shown]
	v_mul_f16_e32 v64, v18, v26
	v_mul_f16_e32 v27, v16, v26
	;; [unrolled: 1-line block ×12, first 2 shown]
	v_add_f16_e32 v52, v52, v63
	v_add_f16_e32 v62, v37, v63
	;; [unrolled: 1-line block ×3, first 2 shown]
	v_fma_f16 v37, v16, v53, -v64
	v_fmac_f16_e32 v27, v18, v53
	v_fma_f16 v31, v21, v54, -v65
	v_fmac_f16_e32 v28, v32, v54
	;; [unrolled: 2-line block ×6, first 2 shown]
	v_add_f16_e32 v15, v58, v52
	v_add_f16_e32 v16, v51, v62
	v_sub_f16_e32 v17, v57, v38
	v_add_f16_e32 v18, v38, v57
	v_sub_f16_e32 v21, v62, v51
	v_sub_f16_e32 v22, v52, v58
	ds_store_b16 v33, v24
	ds_store_b16 v33, v15 offset:90
	ds_store_b16 v33, v16 offset:180
	;; [unrolled: 1-line block ×6, first 2 shown]
	s_and_saveexec_b32 s1, s0
	s_cbranch_execz .LBB0_33
; %bb.32:
	v_add_f16_e32 v15, v37, v35
	v_add_f16_e32 v16, v31, v32
	;; [unrolled: 1-line block ×3, first 2 shown]
	v_sub_f16_e32 v21, v29, v26
	v_sub_f16_e32 v23, v28, v30
	;; [unrolled: 1-line block ×3, first 2 shown]
	v_add_f16_e32 v22, v16, v15
	v_sub_f16_e32 v24, v15, v17
	v_sub_f16_e32 v34, v17, v16
	;; [unrolled: 1-line block ×4, first 2 shown]
	v_add_f16_e32 v17, v17, v22
	v_sub_f16_e32 v22, v21, v23
	v_add_f16_e32 v21, v21, v23
	v_sub_f16_e32 v23, v23, v18
	v_mul_f16_e32 v16, 0x3a52, v24
	v_add_f16_e32 v19, v19, v17
	v_mul_f16_e32 v22, 0xb846, v22
	v_add_f16_e32 v18, v21, v18
	v_mul_f16_e32 v24, 0x3b00, v23
	v_fmamk_f16 v21, v34, 0x2b26, v16
	v_mul_f16_e32 v34, 0x2b26, v34
	v_fmamk_f16 v17, v17, 0xbcab, v19
	v_fmamk_f16 v51, v38, 0x3574, v22
	v_fma_f16 v16, v15, 0xb9e0, -v16
	v_fma_f16 v24, v38, 0xb574, -v24
	;; [unrolled: 1-line block ×4, first 2 shown]
	v_add_f16_e32 v21, v21, v17
	v_fmac_f16_e32 v51, 0x370e, v18
	v_add_f16_e32 v16, v16, v17
	v_fmac_f16_e32 v24, 0x370e, v18
	v_fmac_f16_e32 v22, 0x370e, v18
	v_add_f16_e32 v15, v15, v17
	v_sub_f16_e32 v17, v21, v51
	v_add_f16_e32 v21, v51, v21
	v_sub_f16_e32 v18, v16, v24
	;; [unrolled: 2-line block ×3, first 2 shown]
	v_add_f16_e32 v15, v22, v15
	ds_store_b16 v1, v19 offset:630
	ds_store_b16 v1, v21 offset:720
	;; [unrolled: 1-line block ×7, first 2 shown]
.LBB0_33:
	s_or_b32 exec_lo, exec_lo, s1
	v_add_f16_e32 v15, v43, v48
	v_add_f16_e32 v16, v44, v46
	;; [unrolled: 1-line block ×3, first 2 shown]
	v_sub_f16_e32 v19, v41, v49
	v_sub_f16_e32 v21, v39, v40
	;; [unrolled: 1-line block ×3, first 2 shown]
	v_add_f16_e32 v22, v16, v15
	v_sub_f16_e32 v23, v16, v15
	v_sub_f16_e32 v15, v15, v18
	;; [unrolled: 1-line block ×3, first 2 shown]
	v_add_f16_e32 v24, v21, v19
	v_add_f16_e32 v18, v18, v22
	v_sub_f16_e32 v22, v21, v19
	v_sub_f16_e32 v21, v17, v21
	v_sub_f16_e32 v19, v19, v17
	v_add_f16_e32 v34, v24, v17
	v_add_f16_e32 v38, v25, v18
	v_mul_f16_e32 v15, 0x3a52, v15
	v_mul_f16_e32 v17, 0x2b26, v16
	;; [unrolled: 1-line block ×4, first 2 shown]
	v_fmamk_f16 v18, v18, 0xbcab, v38
	v_fmamk_f16 v16, v16, 0x2b26, v15
	v_fma_f16 v17, v23, 0x39e0, -v17
	v_fma_f16 v15, v23, 0xb9e0, -v15
	v_fmamk_f16 v39, v21, 0x3574, v22
	v_fma_f16 v40, v19, 0x3b00, -v22
	v_fma_f16 v41, v21, 0xb574, -v24
	v_add_f16_e32 v42, v16, v18
	v_add_f16_e32 v43, v17, v18
	;; [unrolled: 1-line block ×3, first 2 shown]
	s_waitcnt lgkmcnt(0)
	s_barrier
	buffer_gl0_inv
	ds_load_u16 v15, v12
	ds_load_u16 v17, v13
	;; [unrolled: 1-line block ×3, first 2 shown]
	ds_load_u16 v19, v10 offset:630
	ds_load_u16 v21, v10 offset:756
	;; [unrolled: 1-line block ×7, first 2 shown]
	v_fmac_f16_e32 v39, 0x370e, v34
	v_fmac_f16_e32 v41, 0x370e, v34
	;; [unrolled: 1-line block ×3, first 2 shown]
	s_waitcnt lgkmcnt(0)
	s_barrier
	v_sub_f16_e32 v34, v42, v39
	v_sub_f16_e32 v45, v44, v41
	v_add_f16_e32 v46, v40, v43
	v_sub_f16_e32 v40, v43, v40
	v_add_f16_e32 v41, v41, v44
	v_add_f16_e32 v39, v39, v42
	buffer_gl0_inv
	ds_store_b16 v33, v38
	ds_store_b16 v33, v34 offset:90
	ds_store_b16 v33, v45 offset:180
	ds_store_b16 v33, v46 offset:270
	ds_store_b16 v33, v40 offset:360
	ds_store_b16 v33, v41 offset:450
	ds_store_b16 v33, v39 offset:540
	s_and_saveexec_b32 s1, s0
	s_cbranch_execz .LBB0_35
; %bb.34:
	v_add_f16_e32 v27, v27, v36
	v_add_f16_e32 v28, v28, v30
	;; [unrolled: 1-line block ×3, first 2 shown]
	v_sub_f16_e32 v29, v31, v32
	v_sub_f16_e32 v5, v5, v7
	;; [unrolled: 1-line block ×3, first 2 shown]
	v_add_f16_e32 v7, v28, v27
	v_sub_f16_e32 v31, v28, v27
	v_sub_f16_e32 v27, v27, v26
	;; [unrolled: 1-line block ×3, first 2 shown]
	v_add_f16_e32 v32, v5, v29
	v_add_f16_e32 v7, v26, v7
	v_sub_f16_e32 v26, v5, v29
	v_sub_f16_e32 v29, v29, v30
	;; [unrolled: 1-line block ×3, first 2 shown]
	v_add_f16_e32 v30, v32, v30
	v_add_f16_e32 v20, v20, v7
	v_mul_f16_e32 v27, 0x3a52, v27
	v_mul_f16_e32 v32, 0x2b26, v28
	;; [unrolled: 1-line block ×4, first 2 shown]
	v_fmamk_f16 v7, v7, 0xbcab, v20
	v_fmamk_f16 v28, v28, 0x2b26, v27
	v_fma_f16 v32, v31, 0x39e0, -v32
	v_fma_f16 v27, v31, 0xb9e0, -v27
	v_fmamk_f16 v31, v5, 0x3574, v26
	v_fma_f16 v5, v5, 0xb574, -v33
	v_fma_f16 v26, v29, 0x3b00, -v26
	v_add_f16_e32 v28, v28, v7
	v_add_f16_e32 v29, v32, v7
	v_fmac_f16_e32 v31, 0x370e, v30
	v_add_f16_e32 v7, v27, v7
	v_fmac_f16_e32 v5, 0x370e, v30
	v_fmac_f16_e32 v26, 0x370e, v30
	s_delay_alu instid0(VALU_DEP_4) | instskip(NEXT) | instid1(VALU_DEP_3)
	v_sub_f16_e32 v27, v28, v31
	v_sub_f16_e32 v30, v7, v5
	s_delay_alu instid0(VALU_DEP_3)
	v_add_f16_e32 v32, v26, v29
	v_sub_f16_e32 v26, v29, v26
	v_add_f16_e32 v5, v5, v7
	v_add_f16_e32 v7, v31, v28
	ds_store_b16 v1, v20 offset:630
	ds_store_b16 v1, v27 offset:720
	;; [unrolled: 1-line block ×7, first 2 shown]
.LBB0_35:
	s_or_b32 exec_lo, exec_lo, s1
	s_waitcnt lgkmcnt(0)
	s_barrier
	buffer_gl0_inv
	s_and_saveexec_b32 s0, vcc_lo
	s_cbranch_execz .LBB0_37
; %bb.36:
	v_dual_mov_b32 v1, 0 :: v_dual_add_nc_u32 v38, 0x17a, v0
	v_add_nc_u32_e32 v57, 0xfc, v0
	s_delay_alu instid0(VALU_DEP_2) | instskip(SKIP_3) | instid1(VALU_DEP_4)
	v_dual_mov_b32 v7, v1 :: v_dual_add_nc_u32 v56, 0x1f8, v0
	v_lshlrev_b64 v[26:27], 2, v[0:1]
	v_mov_b32_e32 v5, v1
	v_mad_u64_u32 v[28:29], null, s8, v38, 0
	v_lshlrev_b64 v[6:7], 2, v[6:7]
	v_add_nc_u32_e32 v37, 0x13b, v0
	v_add_co_u32 v26, vcc_lo, s4, v26
	v_lshlrev_b64 v[4:5], 2, v[4:5]
	v_add_co_ci_u32_e32 v27, vcc_lo, s5, v27, vcc_lo
	v_add_co_u32 v6, vcc_lo, s4, v6
	v_add_co_ci_u32_e32 v7, vcc_lo, s5, v7, vcc_lo
	s_delay_alu instid0(VALU_DEP_4)
	v_add_co_u32 v4, vcc_lo, s4, v4
	global_load_b32 v20, v[26:27], off offset:2256
	v_add_co_ci_u32_e32 v5, vcc_lo, s5, v5, vcc_lo
	s_clause 0x3
	global_load_b32 v40, v[6:7], off offset:1248
	global_load_b32 v41, v[4:5], off offset:1248
	;; [unrolled: 1-line block ×4, first 2 shown]
	v_mad_u64_u32 v[4:5], null, s8, v0, 0
	v_add_co_u32 v54, vcc_lo, s10, v2
	v_mad_u64_u32 v[1:2], null, s8, v9, 0
	ds_load_u16 v44, v14 offset:504
	ds_load_u16 v45, v14 offset:378
	ds_load_u16 v46, v13
	ds_load_u16 v47, v12
	ds_load_u16 v48, v10 offset:1134
	ds_load_u16 v49, v10 offset:1008
	ds_load_u16 v50, v10 offset:882
	ds_load_u16 v51, v10 offset:756
	ds_load_u16 v52, v10 offset:630
	ds_load_u16 v53, v10
	v_add_co_ci_u32_e32 v55, vcc_lo, s11, v3, vcc_lo
	v_mad_u64_u32 v[6:7], null, s8, v8, 0
	v_mad_u64_u32 v[12:13], null, s8, v11, 0
	v_mov_b32_e32 v3, v5
	v_mul_hi_u32 v58, 0xa01a01a1, v57
	v_mad_u64_u32 v[32:33], null, s8, v56, 0
	v_mov_b32_e32 v5, v7
	s_delay_alu instid0(VALU_DEP_4)
	v_mad_u64_u32 v[34:35], null, s9, v9, v[2:3]
	v_mov_b32_e32 v2, v29
	v_mad_u64_u32 v[26:27], null, s8, v37, 0
	v_add_nc_u32_e32 v39, 0x1b9, v0
	v_mov_b32_e32 v7, v13
	v_mad_u64_u32 v[13:14], null, s9, v0, v[3:4]
	v_mad_u64_u32 v[9:10], null, s9, v8, v[5:6]
	s_delay_alu instid0(VALU_DEP_4) | instskip(SKIP_4) | instid1(VALU_DEP_4)
	v_mad_u64_u32 v[30:31], null, s8, v39, 0
	v_mov_b32_e32 v0, v27
	v_mad_u64_u32 v[35:36], null, s9, v11, v[7:8]
	v_sub_nc_u32_e32 v7, v57, v58
	v_mov_b32_e32 v5, v33
	v_mad_u64_u32 v[10:11], null, s9, v37, v[0:1]
	v_mov_b32_e32 v3, v31
	s_delay_alu instid0(VALU_DEP_4) | instskip(SKIP_1) | instid1(VALU_DEP_3)
	v_lshrrev_b32_e32 v0, 1, v7
	v_mov_b32_e32 v7, v9
	v_mad_u64_u32 v[36:37], null, s9, v38, v[2:3]
	s_delay_alu instid0(VALU_DEP_3) | instskip(SKIP_3) | instid1(VALU_DEP_4)
	v_dual_mov_b32 v2, v34 :: v_dual_add_nc_u32 v9, v0, v58
	v_mad_u64_u32 v[37:38], null, s9, v39, v[3:4]
	v_mad_u64_u32 v[38:39], null, s9, v56, v[5:6]
	v_mov_b32_e32 v5, v13
	v_lshrrev_b32_e32 v34, 8, v9
	v_mov_b32_e32 v13, v35
	v_mov_b32_e32 v29, v36
	v_lshlrev_b64 v[0:1], 2, v[1:2]
	v_lshlrev_b64 v[3:4], 2, v[4:5]
	v_mad_u32_u24 v34, 0x13b, v34, v57
	v_lshlrev_b64 v[5:6], 2, v[6:7]
	v_mov_b32_e32 v31, v37
	v_lshlrev_b64 v[7:8], 2, v[12:13]
	v_lshlrev_b64 v[11:12], 2, v[28:29]
	v_add_co_u32 v2, vcc_lo, v54, v3
	v_mad_u64_u32 v[28:29], null, s8, v34, 0
	v_add_nc_u32_e32 v35, 0x13b, v34
	v_add_co_ci_u32_e32 v3, vcc_lo, v55, v4, vcc_lo
	v_add_co_u32 v0, vcc_lo, v54, v0
	v_add_co_ci_u32_e32 v1, vcc_lo, v55, v1, vcc_lo
	v_lshlrev_b64 v[13:14], 2, v[30:31]
	v_add_co_u32 v4, vcc_lo, v54, v5
	v_mad_u64_u32 v[30:31], null, s8, v35, 0
	v_add_co_ci_u32_e32 v5, vcc_lo, v55, v6, vcc_lo
	v_mov_b32_e32 v27, v10
	v_dual_mov_b32 v33, v38 :: v_dual_mov_b32 v6, v29
	v_add_co_u32 v7, vcc_lo, v54, v7
	s_delay_alu instid0(VALU_DEP_3) | instskip(NEXT) | instid1(VALU_DEP_3)
	v_lshlrev_b64 v[9:10], 2, v[26:27]
	v_lshlrev_b64 v[26:27], 2, v[32:33]
	v_add_co_ci_u32_e32 v8, vcc_lo, v55, v8, vcc_lo
	s_delay_alu instid0(VALU_DEP_4) | instskip(SKIP_3) | instid1(VALU_DEP_3)
	v_mad_u64_u32 v[32:33], null, s9, v34, v[6:7]
	v_mov_b32_e32 v6, v31
	v_add_co_u32 v9, vcc_lo, v54, v9
	v_add_co_ci_u32_e32 v10, vcc_lo, v55, v10, vcc_lo
	v_mad_u64_u32 v[33:34], null, s9, v35, v[6:7]
	v_mov_b32_e32 v29, v32
	v_add_co_u32 v11, vcc_lo, v54, v11
	v_add_co_ci_u32_e32 v12, vcc_lo, v55, v12, vcc_lo
	v_add_co_u32 v13, vcc_lo, v54, v13
	v_mov_b32_e32 v31, v33
	v_lshlrev_b64 v[28:29], 2, v[28:29]
	v_add_co_ci_u32_e32 v14, vcc_lo, v55, v14, vcc_lo
	v_add_co_u32 v26, vcc_lo, v54, v26
	s_delay_alu instid0(VALU_DEP_4) | instskip(SKIP_3) | instid1(VALU_DEP_4)
	v_lshlrev_b64 v[30:31], 2, v[30:31]
	v_add_co_ci_u32_e32 v27, vcc_lo, v55, v27, vcc_lo
	v_add_co_u32 v28, vcc_lo, v54, v28
	v_add_co_ci_u32_e32 v29, vcc_lo, v55, v29, vcc_lo
	v_add_co_u32 v30, vcc_lo, v54, v30
	v_add_co_ci_u32_e32 v31, vcc_lo, v55, v31, vcc_lo
	s_waitcnt vmcnt(4)
	v_lshrrev_b32_e32 v6, 16, v20
	s_waitcnt vmcnt(3)
	v_lshrrev_b32_e32 v34, 16, v40
	;; [unrolled: 2-line block ×4, first 2 shown]
	s_waitcnt lgkmcnt(5)
	v_mul_f16_e32 v32, v48, v6
	v_mul_f16_e32 v6, v25, v6
	s_waitcnt vmcnt(0)
	v_lshrrev_b32_e32 v36, 16, v43
	s_waitcnt lgkmcnt(2)
	v_mul_f16_e32 v37, v51, v35
	v_mul_f16_e32 v35, v21, v35
	v_fma_f16 v25, v25, v20, -v32
	v_fmac_f16_e32 v6, v20, v48
	v_mul_f16_e32 v20, v49, v33
	v_mul_f16_e32 v32, v24, v33
	;; [unrolled: 1-line block ×4, first 2 shown]
	s_waitcnt lgkmcnt(1)
	v_mul_f16_e32 v38, v52, v36
	v_mul_f16_e32 v36, v19, v36
	v_fmac_f16_e32 v35, v41, v51
	v_fma_f16 v21, v21, v41, -v37
	v_fmac_f16_e32 v34, v40, v50
	v_fma_f16 v19, v19, v43, -v38
	;; [unrolled: 2-line block ×3, first 2 shown]
	v_fma_f16 v20, v24, v42, -v20
	v_fmac_f16_e32 v32, v42, v49
	v_sub_f16_e32 v33, v46, v34
	v_sub_f16_e32 v34, v47, v35
	;; [unrolled: 1-line block ×3, first 2 shown]
	s_waitcnt lgkmcnt(0)
	v_sub_f16_e32 v35, v53, v36
	v_sub_f16_e32 v21, v15, v21
	;; [unrolled: 1-line block ×7, first 2 shown]
	v_fma_f16 v16, v16, 2.0, -v19
	v_fma_f16 v38, v53, 2.0, -v35
	;; [unrolled: 1-line block ×8, first 2 shown]
	v_pack_b32_f16 v6, v25, v6
	v_fma_f16 v18, v18, 2.0, -v20
	v_fma_f16 v25, v45, 2.0, -v32
	v_pack_b32_f16 v16, v16, v38
	v_pack_b32_f16 v19, v19, v35
	;; [unrolled: 1-line block ×9, first 2 shown]
	s_clause 0x9
	global_store_b32 v[2:3], v16, off
	global_store_b32 v[9:10], v19, off
	;; [unrolled: 1-line block ×10, first 2 shown]
.LBB0_37:
	s_nop 0
	s_sendmsg sendmsg(MSG_DEALLOC_VGPRS)
	s_endpgm
	.section	.rodata,"a",@progbits
	.p2align	6, 0x0
	.amdhsa_kernel fft_rtc_fwd_len630_factors_3_3_5_7_2_wgs_63_tpt_63_halfLds_half_ip_CI_sbrr_dirReg
		.amdhsa_group_segment_fixed_size 0
		.amdhsa_private_segment_fixed_size 0
		.amdhsa_kernarg_size 88
		.amdhsa_user_sgpr_count 15
		.amdhsa_user_sgpr_dispatch_ptr 0
		.amdhsa_user_sgpr_queue_ptr 0
		.amdhsa_user_sgpr_kernarg_segment_ptr 1
		.amdhsa_user_sgpr_dispatch_id 0
		.amdhsa_user_sgpr_private_segment_size 0
		.amdhsa_wavefront_size32 1
		.amdhsa_uses_dynamic_stack 0
		.amdhsa_enable_private_segment 0
		.amdhsa_system_sgpr_workgroup_id_x 1
		.amdhsa_system_sgpr_workgroup_id_y 0
		.amdhsa_system_sgpr_workgroup_id_z 0
		.amdhsa_system_sgpr_workgroup_info 0
		.amdhsa_system_vgpr_workitem_id 0
		.amdhsa_next_free_vgpr 69
		.amdhsa_next_free_sgpr 23
		.amdhsa_reserve_vcc 1
		.amdhsa_float_round_mode_32 0
		.amdhsa_float_round_mode_16_64 0
		.amdhsa_float_denorm_mode_32 3
		.amdhsa_float_denorm_mode_16_64 3
		.amdhsa_dx10_clamp 1
		.amdhsa_ieee_mode 1
		.amdhsa_fp16_overflow 0
		.amdhsa_workgroup_processor_mode 1
		.amdhsa_memory_ordered 1
		.amdhsa_forward_progress 0
		.amdhsa_shared_vgpr_count 0
		.amdhsa_exception_fp_ieee_invalid_op 0
		.amdhsa_exception_fp_denorm_src 0
		.amdhsa_exception_fp_ieee_div_zero 0
		.amdhsa_exception_fp_ieee_overflow 0
		.amdhsa_exception_fp_ieee_underflow 0
		.amdhsa_exception_fp_ieee_inexact 0
		.amdhsa_exception_int_div_zero 0
	.end_amdhsa_kernel
	.text
.Lfunc_end0:
	.size	fft_rtc_fwd_len630_factors_3_3_5_7_2_wgs_63_tpt_63_halfLds_half_ip_CI_sbrr_dirReg, .Lfunc_end0-fft_rtc_fwd_len630_factors_3_3_5_7_2_wgs_63_tpt_63_halfLds_half_ip_CI_sbrr_dirReg
                                        ; -- End function
	.section	.AMDGPU.csdata,"",@progbits
; Kernel info:
; codeLenInByte = 9176
; NumSgprs: 25
; NumVgprs: 69
; ScratchSize: 0
; MemoryBound: 0
; FloatMode: 240
; IeeeMode: 1
; LDSByteSize: 0 bytes/workgroup (compile time only)
; SGPRBlocks: 3
; VGPRBlocks: 8
; NumSGPRsForWavesPerEU: 25
; NumVGPRsForWavesPerEU: 69
; Occupancy: 16
; WaveLimiterHint : 1
; COMPUTE_PGM_RSRC2:SCRATCH_EN: 0
; COMPUTE_PGM_RSRC2:USER_SGPR: 15
; COMPUTE_PGM_RSRC2:TRAP_HANDLER: 0
; COMPUTE_PGM_RSRC2:TGID_X_EN: 1
; COMPUTE_PGM_RSRC2:TGID_Y_EN: 0
; COMPUTE_PGM_RSRC2:TGID_Z_EN: 0
; COMPUTE_PGM_RSRC2:TIDIG_COMP_CNT: 0
	.text
	.p2alignl 7, 3214868480
	.fill 96, 4, 3214868480
	.type	__hip_cuid_f499ae0adf6edd87,@object ; @__hip_cuid_f499ae0adf6edd87
	.section	.bss,"aw",@nobits
	.globl	__hip_cuid_f499ae0adf6edd87
__hip_cuid_f499ae0adf6edd87:
	.byte	0                               ; 0x0
	.size	__hip_cuid_f499ae0adf6edd87, 1

	.ident	"AMD clang version 19.0.0git (https://github.com/RadeonOpenCompute/llvm-project roc-6.4.0 25133 c7fe45cf4b819c5991fe208aaa96edf142730f1d)"
	.section	".note.GNU-stack","",@progbits
	.addrsig
	.addrsig_sym __hip_cuid_f499ae0adf6edd87
	.amdgpu_metadata
---
amdhsa.kernels:
  - .args:
      - .actual_access:  read_only
        .address_space:  global
        .offset:         0
        .size:           8
        .value_kind:     global_buffer
      - .offset:         8
        .size:           8
        .value_kind:     by_value
      - .actual_access:  read_only
        .address_space:  global
        .offset:         16
        .size:           8
        .value_kind:     global_buffer
      - .actual_access:  read_only
        .address_space:  global
        .offset:         24
        .size:           8
        .value_kind:     global_buffer
      - .offset:         32
        .size:           8
        .value_kind:     by_value
      - .actual_access:  read_only
        .address_space:  global
        .offset:         40
        .size:           8
        .value_kind:     global_buffer
      - .actual_access:  read_only
        .address_space:  global
        .offset:         48
        .size:           8
        .value_kind:     global_buffer
      - .offset:         56
        .size:           4
        .value_kind:     by_value
      - .actual_access:  read_only
        .address_space:  global
        .offset:         64
        .size:           8
        .value_kind:     global_buffer
      - .actual_access:  read_only
        .address_space:  global
        .offset:         72
        .size:           8
        .value_kind:     global_buffer
      - .address_space:  global
        .offset:         80
        .size:           8
        .value_kind:     global_buffer
    .group_segment_fixed_size: 0
    .kernarg_segment_align: 8
    .kernarg_segment_size: 88
    .language:       OpenCL C
    .language_version:
      - 2
      - 0
    .max_flat_workgroup_size: 63
    .name:           fft_rtc_fwd_len630_factors_3_3_5_7_2_wgs_63_tpt_63_halfLds_half_ip_CI_sbrr_dirReg
    .private_segment_fixed_size: 0
    .sgpr_count:     25
    .sgpr_spill_count: 0
    .symbol:         fft_rtc_fwd_len630_factors_3_3_5_7_2_wgs_63_tpt_63_halfLds_half_ip_CI_sbrr_dirReg.kd
    .uniform_work_group_size: 1
    .uses_dynamic_stack: false
    .vgpr_count:     69
    .vgpr_spill_count: 0
    .wavefront_size: 32
    .workgroup_processor_mode: 1
amdhsa.target:   amdgcn-amd-amdhsa--gfx1100
amdhsa.version:
  - 1
  - 2
...

	.end_amdgpu_metadata
